;; amdgpu-corpus repo=ROCm/rocFFT kind=compiled arch=gfx1030 opt=O3
	.text
	.amdgcn_target "amdgcn-amd-amdhsa--gfx1030"
	.amdhsa_code_object_version 6
	.protected	fft_rtc_back_len1617_factors_3_7_7_11_wgs_231_tpt_231_half_ip_CI_sbrr_dirReg ; -- Begin function fft_rtc_back_len1617_factors_3_7_7_11_wgs_231_tpt_231_half_ip_CI_sbrr_dirReg
	.globl	fft_rtc_back_len1617_factors_3_7_7_11_wgs_231_tpt_231_half_ip_CI_sbrr_dirReg
	.p2align	8
	.type	fft_rtc_back_len1617_factors_3_7_7_11_wgs_231_tpt_231_half_ip_CI_sbrr_dirReg,@function
fft_rtc_back_len1617_factors_3_7_7_11_wgs_231_tpt_231_half_ip_CI_sbrr_dirReg: ; @fft_rtc_back_len1617_factors_3_7_7_11_wgs_231_tpt_231_half_ip_CI_sbrr_dirReg
; %bb.0:
	s_clause 0x2
	s_load_dwordx2 s[14:15], s[4:5], 0x18
	s_load_dwordx4 s[8:11], s[4:5], 0x0
	s_load_dwordx2 s[12:13], s[4:5], 0x50
	v_mul_u32_u24_e32 v1, 0x11c, v0
	v_mov_b32_e32 v3, 0
	v_add_nc_u32_sdwa v5, s6, v1 dst_sel:DWORD dst_unused:UNUSED_PAD src0_sel:DWORD src1_sel:WORD_1
	v_mov_b32_e32 v1, 0
	v_mov_b32_e32 v6, v3
	v_mov_b32_e32 v2, 0
	s_waitcnt lgkmcnt(0)
	s_load_dwordx2 s[2:3], s[14:15], 0x0
	v_cmp_lt_u64_e64 s0, s[10:11], 2
	s_and_b32 vcc_lo, exec_lo, s0
	s_cbranch_vccnz .LBB0_8
; %bb.1:
	s_load_dwordx2 s[0:1], s[4:5], 0x10
	v_mov_b32_e32 v1, 0
	s_add_u32 s6, s14, 8
	v_mov_b32_e32 v2, 0
	s_addc_u32 s7, s15, 0
	s_mov_b64 s[18:19], 1
	s_waitcnt lgkmcnt(0)
	s_add_u32 s16, s0, 8
	s_addc_u32 s17, s1, 0
.LBB0_2:                                ; =>This Inner Loop Header: Depth=1
	s_load_dwordx2 s[20:21], s[16:17], 0x0
                                        ; implicit-def: $vgpr7_vgpr8
	s_mov_b32 s0, exec_lo
	s_waitcnt lgkmcnt(0)
	v_or_b32_e32 v4, s21, v6
	v_cmpx_ne_u64_e32 0, v[3:4]
	s_xor_b32 s1, exec_lo, s0
	s_cbranch_execz .LBB0_4
; %bb.3:                                ;   in Loop: Header=BB0_2 Depth=1
	v_cvt_f32_u32_e32 v4, s20
	v_cvt_f32_u32_e32 v7, s21
	s_sub_u32 s0, 0, s20
	s_subb_u32 s22, 0, s21
	v_fmac_f32_e32 v4, 0x4f800000, v7
	v_rcp_f32_e32 v4, v4
	v_mul_f32_e32 v4, 0x5f7ffffc, v4
	v_mul_f32_e32 v7, 0x2f800000, v4
	v_trunc_f32_e32 v7, v7
	v_fmac_f32_e32 v4, 0xcf800000, v7
	v_cvt_u32_f32_e32 v7, v7
	v_cvt_u32_f32_e32 v4, v4
	v_mul_lo_u32 v8, s0, v7
	v_mul_hi_u32 v9, s0, v4
	v_mul_lo_u32 v10, s22, v4
	v_add_nc_u32_e32 v8, v9, v8
	v_mul_lo_u32 v9, s0, v4
	v_add_nc_u32_e32 v8, v8, v10
	v_mul_hi_u32 v10, v4, v9
	v_mul_lo_u32 v11, v4, v8
	v_mul_hi_u32 v12, v4, v8
	v_mul_hi_u32 v13, v7, v9
	v_mul_lo_u32 v9, v7, v9
	v_mul_hi_u32 v14, v7, v8
	v_mul_lo_u32 v8, v7, v8
	v_add_co_u32 v10, vcc_lo, v10, v11
	v_add_co_ci_u32_e32 v11, vcc_lo, 0, v12, vcc_lo
	v_add_co_u32 v9, vcc_lo, v10, v9
	v_add_co_ci_u32_e32 v9, vcc_lo, v11, v13, vcc_lo
	v_add_co_ci_u32_e32 v10, vcc_lo, 0, v14, vcc_lo
	v_add_co_u32 v8, vcc_lo, v9, v8
	v_add_co_ci_u32_e32 v9, vcc_lo, 0, v10, vcc_lo
	v_add_co_u32 v4, vcc_lo, v4, v8
	v_add_co_ci_u32_e32 v7, vcc_lo, v7, v9, vcc_lo
	v_mul_hi_u32 v8, s0, v4
	v_mul_lo_u32 v10, s22, v4
	v_mul_lo_u32 v9, s0, v7
	v_add_nc_u32_e32 v8, v8, v9
	v_mul_lo_u32 v9, s0, v4
	v_add_nc_u32_e32 v8, v8, v10
	v_mul_hi_u32 v10, v4, v9
	v_mul_lo_u32 v11, v4, v8
	v_mul_hi_u32 v12, v4, v8
	v_mul_hi_u32 v13, v7, v9
	v_mul_lo_u32 v9, v7, v9
	v_mul_hi_u32 v14, v7, v8
	v_mul_lo_u32 v8, v7, v8
	v_add_co_u32 v10, vcc_lo, v10, v11
	v_add_co_ci_u32_e32 v11, vcc_lo, 0, v12, vcc_lo
	v_add_co_u32 v9, vcc_lo, v10, v9
	v_add_co_ci_u32_e32 v9, vcc_lo, v11, v13, vcc_lo
	v_add_co_ci_u32_e32 v10, vcc_lo, 0, v14, vcc_lo
	v_add_co_u32 v8, vcc_lo, v9, v8
	v_add_co_ci_u32_e32 v9, vcc_lo, 0, v10, vcc_lo
	v_add_co_u32 v4, vcc_lo, v4, v8
	v_add_co_ci_u32_e32 v11, vcc_lo, v7, v9, vcc_lo
	v_mul_hi_u32 v13, v5, v4
	v_mad_u64_u32 v[9:10], null, v6, v4, 0
	v_mad_u64_u32 v[7:8], null, v5, v11, 0
	;; [unrolled: 1-line block ×3, first 2 shown]
	v_add_co_u32 v4, vcc_lo, v13, v7
	v_add_co_ci_u32_e32 v7, vcc_lo, 0, v8, vcc_lo
	v_add_co_u32 v4, vcc_lo, v4, v9
	v_add_co_ci_u32_e32 v4, vcc_lo, v7, v10, vcc_lo
	v_add_co_ci_u32_e32 v7, vcc_lo, 0, v12, vcc_lo
	v_add_co_u32 v4, vcc_lo, v4, v11
	v_add_co_ci_u32_e32 v9, vcc_lo, 0, v7, vcc_lo
	v_mul_lo_u32 v10, s21, v4
	v_mad_u64_u32 v[7:8], null, s20, v4, 0
	v_mul_lo_u32 v11, s20, v9
	v_sub_co_u32 v7, vcc_lo, v5, v7
	v_add3_u32 v8, v8, v11, v10
	v_sub_nc_u32_e32 v10, v6, v8
	v_subrev_co_ci_u32_e64 v10, s0, s21, v10, vcc_lo
	v_add_co_u32 v11, s0, v4, 2
	v_add_co_ci_u32_e64 v12, s0, 0, v9, s0
	v_sub_co_u32 v13, s0, v7, s20
	v_sub_co_ci_u32_e32 v8, vcc_lo, v6, v8, vcc_lo
	v_subrev_co_ci_u32_e64 v10, s0, 0, v10, s0
	v_cmp_le_u32_e32 vcc_lo, s20, v13
	v_cmp_eq_u32_e64 s0, s21, v8
	v_cndmask_b32_e64 v13, 0, -1, vcc_lo
	v_cmp_le_u32_e32 vcc_lo, s21, v10
	v_cndmask_b32_e64 v14, 0, -1, vcc_lo
	v_cmp_le_u32_e32 vcc_lo, s20, v7
	;; [unrolled: 2-line block ×3, first 2 shown]
	v_cndmask_b32_e64 v15, 0, -1, vcc_lo
	v_cmp_eq_u32_e32 vcc_lo, s21, v10
	v_cndmask_b32_e64 v7, v15, v7, s0
	v_cndmask_b32_e32 v10, v14, v13, vcc_lo
	v_add_co_u32 v13, vcc_lo, v4, 1
	v_add_co_ci_u32_e32 v14, vcc_lo, 0, v9, vcc_lo
	v_cmp_ne_u32_e32 vcc_lo, 0, v10
	v_cndmask_b32_e32 v8, v14, v12, vcc_lo
	v_cndmask_b32_e32 v10, v13, v11, vcc_lo
	v_cmp_ne_u32_e32 vcc_lo, 0, v7
	v_cndmask_b32_e32 v8, v9, v8, vcc_lo
	v_cndmask_b32_e32 v7, v4, v10, vcc_lo
.LBB0_4:                                ;   in Loop: Header=BB0_2 Depth=1
	s_andn2_saveexec_b32 s0, s1
	s_cbranch_execz .LBB0_6
; %bb.5:                                ;   in Loop: Header=BB0_2 Depth=1
	v_cvt_f32_u32_e32 v4, s20
	s_sub_i32 s1, 0, s20
	v_rcp_iflag_f32_e32 v4, v4
	v_mul_f32_e32 v4, 0x4f7ffffe, v4
	v_cvt_u32_f32_e32 v4, v4
	v_mul_lo_u32 v7, s1, v4
	v_mul_hi_u32 v7, v4, v7
	v_add_nc_u32_e32 v4, v4, v7
	v_mul_hi_u32 v4, v5, v4
	v_mul_lo_u32 v7, v4, s20
	v_add_nc_u32_e32 v8, 1, v4
	v_sub_nc_u32_e32 v7, v5, v7
	v_subrev_nc_u32_e32 v9, s20, v7
	v_cmp_le_u32_e32 vcc_lo, s20, v7
	v_cndmask_b32_e32 v7, v7, v9, vcc_lo
	v_cndmask_b32_e32 v4, v4, v8, vcc_lo
	v_cmp_le_u32_e32 vcc_lo, s20, v7
	v_add_nc_u32_e32 v8, 1, v4
	v_cndmask_b32_e32 v7, v4, v8, vcc_lo
	v_mov_b32_e32 v8, v3
.LBB0_6:                                ;   in Loop: Header=BB0_2 Depth=1
	s_or_b32 exec_lo, exec_lo, s0
	s_load_dwordx2 s[0:1], s[6:7], 0x0
	v_mul_lo_u32 v4, v8, s20
	v_mul_lo_u32 v11, v7, s21
	v_mad_u64_u32 v[9:10], null, v7, s20, 0
	s_add_u32 s18, s18, 1
	s_addc_u32 s19, s19, 0
	s_add_u32 s6, s6, 8
	s_addc_u32 s7, s7, 0
	;; [unrolled: 2-line block ×3, first 2 shown]
	v_add3_u32 v4, v10, v11, v4
	v_sub_co_u32 v5, vcc_lo, v5, v9
	v_sub_co_ci_u32_e32 v4, vcc_lo, v6, v4, vcc_lo
	s_waitcnt lgkmcnt(0)
	v_mul_lo_u32 v6, s1, v5
	v_mul_lo_u32 v4, s0, v4
	v_mad_u64_u32 v[1:2], null, s0, v5, v[1:2]
	v_cmp_ge_u64_e64 s0, s[18:19], s[10:11]
	s_and_b32 vcc_lo, exec_lo, s0
	v_add3_u32 v2, v6, v2, v4
	s_cbranch_vccnz .LBB0_9
; %bb.7:                                ;   in Loop: Header=BB0_2 Depth=1
	v_mov_b32_e32 v5, v7
	v_mov_b32_e32 v6, v8
	s_branch .LBB0_2
.LBB0_8:
	v_mov_b32_e32 v8, v6
	v_mov_b32_e32 v7, v5
.LBB0_9:
	s_lshl_b64 s[0:1], s[10:11], 3
	v_mul_hi_u32 v3, 0x11bb4a5, v0
	s_add_u32 s0, s14, s0
	s_addc_u32 s1, s15, s1
	s_load_dwordx2 s[0:1], s[0:1], 0x0
	s_load_dwordx2 s[4:5], s[4:5], 0x20
	v_mul_u32_u24_e32 v3, 0xe7, v3
	v_sub_nc_u32_e32 v32, v0, v3
	v_add_nc_u32_e32 v3, 0xe7, v32
	s_waitcnt lgkmcnt(0)
	v_mul_lo_u32 v4, s0, v8
	v_mul_lo_u32 v5, s1, v7
	v_mad_u64_u32 v[1:2], null, s0, v7, v[1:2]
	v_cmp_gt_u64_e32 vcc_lo, s[4:5], v[7:8]
	v_cmp_le_u64_e64 s0, s[4:5], v[7:8]
	v_add3_u32 v2, v5, v2, v4
	s_and_saveexec_b32 s1, s0
	s_xor_b32 s0, exec_lo, s1
; %bb.10:
	v_add_nc_u32_e32 v3, 0xe7, v32
; %bb.11:
	s_or_saveexec_b32 s1, s0
	v_lshlrev_b64 v[10:11], 2, v[1:2]
                                        ; implicit-def: $vgpr14
                                        ; implicit-def: $vgpr12
                                        ; implicit-def: $vgpr13
                                        ; implicit-def: $vgpr2
                                        ; implicit-def: $vgpr4
                                        ; implicit-def: $vgpr1
                                        ; implicit-def: $vgpr6
                                        ; implicit-def: $vgpr8
                                        ; implicit-def: $vgpr5
	s_xor_b32 exec_lo, exec_lo, s1
	s_cbranch_execz .LBB0_15
; %bb.12:
	v_mad_u64_u32 v[1:2], null, s2, v32, 0
	v_add_nc_u32_e32 v14, 0x21b, v32
	v_add_nc_u32_e32 v16, 0x436, v32
	v_mad_u64_u32 v[12:13], null, s2, v3, 0
	v_add_nc_u32_e32 v20, 0x302, v32
	v_mad_u64_u32 v[4:5], null, s2, v14, 0
	v_mov_b32_e32 v0, v2
	v_mad_u64_u32 v[8:9], null, s2, v16, 0
	v_add_nc_u32_e32 v21, 0x51d, v32
	s_mov_b32 s4, exec_lo
	v_mad_u64_u32 v[6:7], null, s3, v32, v[0:1]
	v_mov_b32_e32 v0, v5
	v_mad_u64_u32 v[18:19], null, s2, v21, 0
	v_mov_b32_e32 v5, v9
	v_mad_u64_u32 v[14:15], null, s3, v14, v[0:1]
	v_add_co_u32 v0, s0, s12, v10
	v_mad_u64_u32 v[15:16], null, s3, v16, v[5:6]
	v_mad_u64_u32 v[16:17], null, s2, v20, 0
	v_mov_b32_e32 v2, v6
	v_add_co_ci_u32_e64 v7, s0, s13, v11, s0
	v_mov_b32_e32 v6, v13
	v_mov_b32_e32 v5, v14
	v_lshlrev_b64 v[1:2], 2, v[1:2]
	v_mov_b32_e32 v9, v15
	v_mad_u64_u32 v[13:14], null, s3, v3, v[6:7]
	v_mov_b32_e32 v6, v17
	v_lshlrev_b64 v[4:5], 2, v[4:5]
	v_add_co_u32 v1, s0, v0, v1
	v_lshlrev_b64 v[8:9], 2, v[8:9]
	v_mad_u64_u32 v[14:15], null, s3, v20, v[6:7]
	v_mov_b32_e32 v6, v19
	v_add_co_ci_u32_e64 v2, s0, v7, v2, s0
	v_add_co_u32 v4, s0, v0, v4
	v_mad_u64_u32 v[19:20], null, s3, v21, v[6:7]
	v_mov_b32_e32 v17, v14
	v_add_co_ci_u32_e64 v5, s0, v7, v5, s0
	v_lshlrev_b64 v[12:13], 2, v[12:13]
	v_add_co_u32 v14, s0, v0, v8
	v_add_co_ci_u32_e64 v15, s0, v7, v9, s0
	v_lshlrev_b64 v[8:9], 2, v[16:17]
	v_add_co_u32 v12, s0, v0, v12
	v_lshlrev_b64 v[16:17], 2, v[18:19]
	v_add_co_ci_u32_e64 v13, s0, v7, v13, s0
	v_add_co_u32 v18, s0, v0, v8
	v_add_co_ci_u32_e64 v19, s0, v7, v9, s0
	v_add_co_u32 v16, s0, v0, v16
	v_add_co_ci_u32_e64 v17, s0, v7, v17, s0
	s_clause 0x5
	global_load_dword v6, v[1:2], off
	global_load_dword v8, v[4:5], off
	;; [unrolled: 1-line block ×6, first 2 shown]
                                        ; implicit-def: $vgpr13
                                        ; implicit-def: $vgpr12
                                        ; implicit-def: $vgpr14
	v_cmpx_gt_u32_e32 0x4d, v32
	s_cbranch_execz .LBB0_14
; %bb.13:
	v_add_nc_u32_e32 v18, 0x1ce, v32
	v_add_nc_u32_e32 v19, 0x3e9, v32
	;; [unrolled: 1-line block ×3, first 2 shown]
	v_mad_u64_u32 v[12:13], null, s2, v18, 0
	v_mad_u64_u32 v[14:15], null, s2, v19, 0
	;; [unrolled: 1-line block ×3, first 2 shown]
	v_mov_b32_e32 v9, v13
	v_mov_b32_e32 v13, v15
	;; [unrolled: 1-line block ×3, first 2 shown]
	v_mad_u64_u32 v[17:18], null, s3, v18, v[9:10]
	v_mad_u64_u32 v[18:19], null, s3, v19, v[13:14]
	;; [unrolled: 1-line block ×3, first 2 shown]
	v_mov_b32_e32 v13, v17
	v_mov_b32_e32 v15, v18
	;; [unrolled: 1-line block ×3, first 2 shown]
	v_lshlrev_b64 v[12:13], 2, v[12:13]
	v_lshlrev_b64 v[14:15], 2, v[14:15]
	;; [unrolled: 1-line block ×3, first 2 shown]
	v_add_co_u32 v12, s0, v0, v12
	v_add_co_ci_u32_e64 v13, s0, v7, v13, s0
	v_add_co_u32 v14, s0, v0, v14
	v_add_co_ci_u32_e64 v15, s0, v7, v15, s0
	;; [unrolled: 2-line block ×3, first 2 shown]
	s_clause 0x2
	global_load_dword v13, v[12:13], off
	global_load_dword v14, v[14:15], off
	;; [unrolled: 1-line block ×3, first 2 shown]
.LBB0_14:
	s_or_b32 exec_lo, exec_lo, s4
.LBB0_15:
	s_or_b32 exec_lo, exec_lo, s1
	s_waitcnt vmcnt(0)
	v_pk_add_f16 v7, v12, v14
	v_pk_add_f16 v15, v6, v8
	;; [unrolled: 1-line block ×3, first 2 shown]
	v_pk_add_f16 v8, v8, v5 neg_lo:[0,1] neg_hi:[0,1]
	v_pk_add_f16 v17, v4, v1
	v_pk_add_f16 v18, v4, v1 neg_lo:[0,1] neg_hi:[0,1]
	v_pk_add_f16 v9, v14, v12 neg_lo:[0,1] neg_hi:[0,1]
	v_pk_fma_f16 v7, v7, 0.5, v13 op_sel_hi:[1,0,1] neg_lo:[1,0,0] neg_hi:[1,0,0]
	v_pk_fma_f16 v6, v16, 0.5, v6 op_sel_hi:[1,0,1] neg_lo:[1,0,0] neg_hi:[1,0,0]
	v_pk_mul_f16 v8, 0x3aee, v8 op_sel_hi:[0,1]
	v_pk_fma_f16 v16, v17, 0.5, v2 op_sel_hi:[1,0,1] neg_lo:[1,0,0] neg_hi:[1,0,0]
	v_pk_mul_f16 v17, 0x3aee, v18 op_sel_hi:[0,1]
	v_pk_fma_f16 v33, 0x3aee, v9, v7 op_sel:[0,0,1] op_sel_hi:[0,1,0] neg_lo:[0,1,0] neg_hi:[0,1,0]
	v_pk_fma_f16 v34, 0x3aee, v9, v7 op_sel:[0,0,1] op_sel_hi:[0,1,0]
	v_pk_add_f16 v7, v6, v8 op_sel:[0,1] op_sel_hi:[1,0] neg_lo:[0,1] neg_hi:[0,1]
	v_pk_add_f16 v6, v6, v8 op_sel:[0,1] op_sel_hi:[1,0]
	v_pk_add_f16 v5, v15, v5
	v_pk_add_f16 v4, v2, v4
	v_pk_add_f16 v8, v16, v17 op_sel:[0,1] op_sel_hi:[1,0] neg_lo:[0,1] neg_hi:[0,1]
	v_pk_add_f16 v15, v16, v17 op_sel:[0,1] op_sel_hi:[1,0]
	v_mad_u32_u24 v0, v32, 12, 0
	v_lshrrev_b32_e32 v9, 16, v33
	v_bfi_b32 v16, 0xffff, v7, v6
	v_mad_i32_i24 v2, v3, 12, 0
	v_bfi_b32 v6, 0xffff, v6, v7
	v_pk_add_f16 v1, v4, v1
	v_bfi_b32 v4, 0xffff, v8, v15
	v_bfi_b32 v7, 0xffff, v15, v8
	s_mov_b32 s1, exec_lo
	ds_write2_b32 v0, v5, v16 offset1:1
	ds_write_b32 v0, v6 offset:8
	ds_write2_b32 v2, v1, v4 offset1:1
	ds_write_b32 v2, v7 offset:8
	v_cmpx_gt_u32_e32 0x4d, v32
	s_cbranch_execz .LBB0_17
; %bb.16:
	v_pk_add_f16 v1, v14, v13
	v_add_nc_u32_e32 v4, 0x15ac, v0
	v_perm_b32 v5, v34, v9, 0x5040100
	v_alignbit_b32 v6, v33, v34, 16
	v_pk_add_f16 v1, v12, v1
	ds_write_b32 v0, v1 offset:5544
	ds_write2_b32 v4, v5, v6 offset1:1
.LBB0_17:
	s_or_b32 exec_lo, exec_lo, s1
	v_and_b32_e32 v1, 0xff, v32
	v_mov_b32_e32 v16, 6
	s_waitcnt lgkmcnt(0)
	s_barrier
	buffer_gl0_inv
	v_mul_lo_u16 v4, 0xab, v1
	v_mul_lo_u16 v1, 0x87, v1
	v_lshlrev_b32_e32 v3, 3, v3
	v_mov_b32_e32 v26, 2
	v_cmp_gt_u32_e64 s0, 0x93, v32
	v_lshrrev_b16 v8, 9, v4
	v_lshrrev_b16 v18, 8, v1
	v_lshlrev_b32_e32 v1, 3, v32
	v_sub_nc_u32_e32 v20, v2, v3
	v_mul_lo_u16 v4, v8, 3
	v_sub_nc_u16 v14, v32, v18
	v_sub_nc_u32_e32 v19, v0, v1
	v_sub_nc_u16 v17, v32, v4
	v_lshrrev_b16 v2, 1, v14
	v_add_nc_u32_e32 v21, 0x700, v19
	v_add_nc_u32_e32 v22, 0xe40, v19
	v_mul_u32_u24_sdwa v4, v17, v16 dst_sel:DWORD dst_unused:UNUSED_PAD src0_sel:BYTE_0 src1_sel:DWORD
	v_and_b32_e32 v25, 0x7f, v2
	v_lshlrev_b32_sdwa v17, v26, v17 dst_sel:DWORD dst_unused:UNUSED_PAD src0_sel:DWORD src1_sel:BYTE_0
	v_lshlrev_b32_e32 v12, 2, v4
	v_add_nc_u16 v18, v25, v18
	v_mov_b32_e32 v25, 0x54
	s_clause 0x1
	global_load_dwordx4 v[4:7], v12, s[8:9]
	global_load_dwordx2 v[12:13], v12, s[8:9] offset:16
	ds_read_b32 v23, v20
	ds_read_b32 v24, v19 offset:5544
	ds_read2_b32 v[2:3], v21 offset0:14 offset1:245
	ds_read2_b32 v[14:15], v22 offset0:12 offset1:243
	v_mul_u32_u24_sdwa v8, v8, v25 dst_sel:DWORD dst_unused:UNUSED_PAD src0_sel:WORD_0 src1_sel:DWORD
	ds_read_b32 v25, v19
	v_lshrrev_b16 v18, 4, v18
	s_waitcnt vmcnt(0) lgkmcnt(0)
	s_barrier
	v_add3_u32 v8, 0, v8, v17
	buffer_gl0_inv
	v_and_b32_e32 v18, 15, v18
	v_mul_lo_u16 v29, v18, 21
	v_sub_nc_u16 v29, v32, v29
	v_lshrrev_b32_e32 v27, 16, v23
	v_lshrrev_b32_e32 v28, 16, v24
	;; [unrolled: 1-line block ×6, first 2 shown]
	v_mul_u32_u24_sdwa v16, v29, v16 dst_sel:DWORD dst_unused:UNUSED_PAD src0_sel:BYTE_0 src1_sel:DWORD
	v_mul_f16_sdwa v36, v4, v27 dst_sel:DWORD dst_unused:UNUSED_PAD src0_sel:WORD_1 src1_sel:DWORD
	v_mul_f16_sdwa v37, v4, v23 dst_sel:DWORD dst_unused:UNUSED_PAD src0_sel:WORD_1 src1_sel:DWORD
	;; [unrolled: 1-line block ×12, first 2 shown]
	v_fmac_f16_e32 v36, v4, v23
	v_fma_f16 v4, v4, v27, -v37
	v_fmac_f16_e32 v38, v5, v2
	v_fma_f16 v2, v5, v17, -v39
	;; [unrolled: 2-line block ×3, first 2 shown]
	v_fmac_f16_e32 v42, v7, v14
	v_fmac_f16_e32 v46, v13, v24
	v_fma_f16 v5, v13, v28, -v47
	v_fma_f16 v6, v7, v31, -v43
	v_fmac_f16_e32 v44, v12, v15
	v_fma_f16 v7, v12, v35, -v45
	v_add_f16_e32 v12, v36, v46
	v_add_f16_e32 v13, v4, v5
	v_sub_f16_e32 v4, v4, v5
	v_add_f16_e32 v5, v38, v44
	v_add_f16_e32 v15, v2, v7
	v_sub_f16_e32 v14, v36, v46
	v_sub_f16_e32 v17, v38, v44
	;; [unrolled: 1-line block ×3, first 2 shown]
	v_add_f16_e32 v7, v40, v42
	v_add_f16_e32 v23, v3, v6
	v_sub_f16_e32 v24, v42, v40
	v_sub_f16_e32 v3, v6, v3
	v_add_f16_e32 v6, v5, v12
	v_add_f16_e32 v27, v15, v13
	v_sub_f16_e32 v28, v5, v12
	v_sub_f16_e32 v30, v15, v13
	;; [unrolled: 1-line block ×6, first 2 shown]
	v_add_f16_e32 v31, v24, v17
	v_add_f16_e32 v35, v3, v2
	v_sub_f16_e32 v36, v24, v17
	v_sub_f16_e32 v37, v3, v2
	;; [unrolled: 1-line block ×4, first 2 shown]
	v_add_f16_e32 v6, v7, v6
	v_add_f16_e32 v7, v23, v27
	v_sub_f16_e32 v24, v14, v24
	v_sub_f16_e32 v3, v4, v3
	v_add_f16_e32 v14, v31, v14
	v_add_f16_e32 v4, v35, v4
	v_mul_f16_e32 v12, 0x3a52, v12
	v_mul_f16_e32 v13, 0x3a52, v13
	;; [unrolled: 1-line block ×8, first 2 shown]
	v_add_f16_e32 v38, v6, v25
	v_add_f16_sdwa v25, v7, v25 dst_sel:DWORD dst_unused:UNUSED_PAD src0_sel:DWORD src1_sel:WORD_1
	v_fmamk_f16 v5, v5, 0x2b26, v12
	v_fmamk_f16 v15, v15, 0x2b26, v13
	v_fma_f16 v23, v28, 0x39e0, -v23
	v_fma_f16 v27, v30, 0x39e0, -v27
	;; [unrolled: 1-line block ×4, first 2 shown]
	v_fmamk_f16 v28, v24, 0xb574, v31
	v_fmamk_f16 v30, v3, 0xb574, v35
	v_fma_f16 v17, v17, 0xbb00, -v31
	v_fma_f16 v24, v24, 0x3574, -v36
	;; [unrolled: 1-line block ×3, first 2 shown]
	v_fmamk_f16 v6, v6, 0xbcab, v38
	v_fmamk_f16 v7, v7, 0xbcab, v25
	v_fma_f16 v2, v2, 0xbb00, -v35
	v_fmac_f16_e32 v28, 0xb70e, v14
	v_fmac_f16_e32 v30, 0xb70e, v4
	;; [unrolled: 1-line block ×5, first 2 shown]
	v_add_f16_e32 v5, v5, v6
	v_add_f16_e32 v14, v15, v7
	;; [unrolled: 1-line block ×5, first 2 shown]
	v_fmac_f16_e32 v2, 0xb70e, v4
	v_add_f16_e32 v7, v27, v7
	v_pack_b32_f16 v4, v38, v25
	v_add_f16_e32 v13, v30, v5
	v_sub_f16_e32 v23, v14, v28
	v_add_f16_e32 v25, v3, v6
	v_sub_f16_e32 v3, v6, v3
	;; [unrolled: 2-line block ×3, first 2 shown]
	v_sub_f16_e32 v31, v15, v2
	v_add_f16_e32 v35, v17, v7
	v_add_f16_e32 v2, v2, v15
	v_sub_f16_e32 v7, v7, v17
	v_sub_f16_e32 v5, v5, v30
	v_add_f16_e32 v12, v28, v14
	v_pack_b32_f16 v13, v13, v23
	v_pack_b32_f16 v3, v3, v6
	v_lshlrev_b32_e32 v6, 2, v16
	v_pack_b32_f16 v14, v25, v27
	v_pack_b32_f16 v15, v31, v35
	;; [unrolled: 1-line block ×4, first 2 shown]
	ds_write2_b32 v8, v4, v13 offset1:3
	ds_write2_b32 v8, v14, v15 offset0:6 offset1:9
	ds_write2_b32 v8, v2, v3 offset0:12 offset1:15
	ds_write_b32 v8, v5 offset:72
	s_waitcnt lgkmcnt(0)
	s_barrier
	buffer_gl0_inv
	s_clause 0x1
	global_load_dwordx4 v[2:5], v6, s[8:9] offset:72
	global_load_dwordx2 v[6:7], v6, s[8:9] offset:88
	ds_read_b32 v8, v20
	ds_read2_b32 v[12:13], v21 offset0:14 offset1:245
	ds_read2_b32 v[15:16], v22 offset0:12 offset1:243
	ds_read_b32 v17, v19 offset:5544
	v_mov_b32_e32 v14, 0x24c
	v_lshlrev_b32_sdwa v20, v26, v29 dst_sel:DWORD dst_unused:UNUSED_PAD src0_sel:DWORD src1_sel:BYTE_0
	ds_read_b32 v19, v19
	s_waitcnt vmcnt(0) lgkmcnt(0)
	s_barrier
	v_mul_u32_u24_sdwa v18, v18, v14 dst_sel:DWORD dst_unused:UNUSED_PAD src0_sel:WORD_0 src1_sel:DWORD
	v_lshrrev_b32_e32 v14, 16, v34
	buffer_gl0_inv
                                        ; implicit-def: $vgpr43
                                        ; implicit-def: $vgpr42
                                        ; implicit-def: $vgpr44
	v_add3_u32 v20, 0, v18, v20
	v_lshrrev_b32_e32 v18, 16, v8
	v_lshrrev_b32_e32 v21, 16, v12
	;; [unrolled: 1-line block ×6, first 2 shown]
	v_mul_f16_sdwa v26, v2, v18 dst_sel:DWORD dst_unused:UNUSED_PAD src0_sel:WORD_1 src1_sel:DWORD
	v_mul_f16_sdwa v27, v2, v8 dst_sel:DWORD dst_unused:UNUSED_PAD src0_sel:WORD_1 src1_sel:DWORD
	;; [unrolled: 1-line block ×12, first 2 shown]
	v_fmac_f16_e32 v26, v2, v8
	v_fma_f16 v2, v2, v18, -v27
	v_fmac_f16_e32 v28, v3, v12
	v_fma_f16 v3, v3, v21, -v29
	;; [unrolled: 2-line block ×6, first 2 shown]
	v_add_f16_e32 v8, v26, v39
	v_add_f16_e32 v12, v2, v7
	v_sub_f16_e32 v2, v2, v7
	v_add_f16_e32 v7, v28, v37
	v_add_f16_e32 v15, v3, v6
	v_sub_f16_e32 v13, v26, v39
	v_sub_f16_e32 v16, v28, v37
	;; [unrolled: 1-line block ×3, first 2 shown]
	v_add_f16_e32 v6, v30, v35
	v_add_f16_e32 v17, v4, v5
	v_sub_f16_e32 v18, v35, v30
	v_sub_f16_e32 v4, v5, v4
	v_add_f16_e32 v5, v7, v8
	v_add_f16_e32 v21, v15, v12
	v_sub_f16_e32 v22, v7, v8
	v_sub_f16_e32 v23, v15, v12
	;; [unrolled: 1-line block ×6, first 2 shown]
	v_add_f16_e32 v24, v18, v16
	v_add_f16_e32 v25, v4, v3
	v_sub_f16_e32 v26, v18, v16
	v_sub_f16_e32 v27, v4, v3
	;; [unrolled: 1-line block ×3, first 2 shown]
	v_add_f16_e32 v5, v6, v5
	v_add_f16_e32 v6, v17, v21
	v_sub_f16_e32 v3, v3, v2
	v_sub_f16_e32 v18, v13, v18
	;; [unrolled: 1-line block ×3, first 2 shown]
	v_add_f16_e32 v13, v24, v13
	v_add_f16_e32 v2, v25, v2
	v_mul_f16_e32 v8, 0x3a52, v8
	v_mul_f16_e32 v17, 0x3a52, v12
	;; [unrolled: 1-line block ×7, first 2 shown]
	v_add_f16_e32 v12, v5, v19
	v_add_f16_sdwa v35, v6, v19 dst_sel:DWORD dst_unused:UNUSED_PAD src0_sel:DWORD src1_sel:WORD_1
	v_mul_f16_e32 v28, 0xbb00, v3
	v_fmamk_f16 v7, v7, 0x2b26, v8
	v_fmamk_f16 v15, v15, 0x2b26, v17
	v_fma_f16 v19, v22, 0x39e0, -v21
	v_fma_f16 v21, v23, 0x39e0, -v24
	;; [unrolled: 1-line block ×4, first 2 shown]
	v_fmamk_f16 v22, v18, 0xb574, v25
	v_fmamk_f16 v23, v4, 0xb574, v26
	v_fma_f16 v24, v16, 0xbb00, -v25
	v_fma_f16 v25, v18, 0x3574, -v27
	v_fmamk_f16 v5, v5, 0xbcab, v12
	v_fmamk_f16 v6, v6, 0xbcab, v35
	v_fma_f16 v3, v3, 0xbb00, -v26
	v_fma_f16 v4, v4, 0x3574, -v28
	v_fmac_f16_e32 v22, 0xb70e, v13
	v_fmac_f16_e32 v23, 0xb70e, v2
	;; [unrolled: 1-line block ×3, first 2 shown]
	v_add_f16_e32 v7, v7, v5
	v_add_f16_e32 v15, v15, v6
	;; [unrolled: 1-line block ×5, first 2 shown]
	v_fmac_f16_e32 v24, 0xb70e, v13
	v_fmac_f16_e32 v3, 0xb70e, v2
	;; [unrolled: 1-line block ×3, first 2 shown]
	v_add_f16_e32 v6, v21, v6
	v_add_f16_e32 v13, v23, v7
	v_sub_f16_e32 v36, v15, v22
	v_sub_f16_e32 v38, v8, v25
	v_add_f16_e32 v40, v25, v8
	v_sub_f16_e32 v8, v7, v23
	v_add_f16_e32 v41, v22, v15
	v_add_f16_e32 v18, v4, v5
	v_sub_f16_e32 v19, v16, v3
	v_add_f16_e32 v37, v24, v6
	v_add_f16_e32 v16, v3, v16
	v_sub_f16_e32 v39, v6, v24
	v_sub_f16_e32 v17, v5, v4
	v_pack_b32_f16 v2, v12, v35
	v_pack_b32_f16 v3, v13, v36
	;; [unrolled: 1-line block ×7, first 2 shown]
	ds_write2_b32 v20, v2, v3 offset1:21
	ds_write2_b32 v20, v4, v5 offset0:42 offset1:63
	ds_write2_b32 v20, v6, v7 offset0:84 offset1:105
	ds_write_b32 v20, v15 offset:504
	s_waitcnt lgkmcnt(0)
	s_barrier
	buffer_gl0_inv
	s_and_saveexec_b32 s1, s0
	s_cbranch_execnz .LBB0_20
; %bb.18:
	s_or_b32 exec_lo, exec_lo, s1
	s_and_b32 s0, vcc_lo, s0
	s_and_saveexec_b32 s1, s0
	s_cbranch_execnz .LBB0_21
.LBB0_19:
	s_endpgm
.LBB0_20:
	v_sub_nc_u32_e32 v1, 0, v1
	v_add_nc_u32_e32 v0, v0, v1
	v_add_nc_u32_e32 v1, 0x1200, v0
	;; [unrolled: 1-line block ×4, first 2 shown]
	ds_read2_b32 v[12:13], v0 offset1:147
	ds_read_b32 v42, v0 offset:5880
	v_add_nc_u32_e32 v0, 0xd00, v0
	ds_read2_b32 v[14:15], v1 offset0:24 offset1:171
	ds_read2_b32 v[18:19], v2 offset0:38 offset1:185
	;; [unrolled: 1-line block ×4, first 2 shown]
	s_waitcnt lgkmcnt(5)
	v_lshrrev_b32_e32 v35, 16, v12
	s_waitcnt lgkmcnt(4)
	v_lshrrev_b32_e32 v43, 16, v42
	v_lshrrev_b32_e32 v36, 16, v13
	s_waitcnt lgkmcnt(3)
	v_lshrrev_b32_e32 v33, 16, v14
	;; [unrolled: 3-line block ×5, first 2 shown]
	v_lshrrev_b32_e32 v34, 16, v9
	s_or_b32 exec_lo, exec_lo, s1
	s_and_b32 s0, vcc_lo, s0
	s_and_saveexec_b32 s1, s0
	s_cbranch_execz .LBB0_19
.LBB0_21:
	v_mul_u32_u24_e32 v0, 10, v32
	v_add_nc_u32_e32 v45, 0x93, v32
	v_add_nc_u32_e32 v47, 0x1b9, v32
	v_mad_u64_u32 v[24:25], null, s2, v32, 0
	v_lshlrev_b32_e32 v4, 2, v0
	v_add_nc_u32_e32 v46, 0x126, v32
	v_mad_u64_u32 v[30:31], null, s2, v45, 0
	v_mad_u64_u32 v[26:27], null, s2, v47, 0
	s_clause 0x2
	global_load_dwordx2 v[20:21], v4, s[8:9] offset:608
	global_load_dwordx4 v[0:3], v4, s[8:9] offset:576
	global_load_dwordx4 v[4:7], v4, s[8:9] offset:592
	v_mad_u64_u32 v[28:29], null, s2, v46, 0
	v_add_nc_u32_e32 v51, 0x24c, v32
	v_add_co_u32 v10, vcc_lo, s12, v10
	v_mad_u64_u32 v[48:49], null, s3, v32, v[25:26]
	v_mov_b32_e32 v25, v31
	v_mad_u64_u32 v[22:23], null, s2, v51, 0
	v_add_nc_u32_e32 v52, 0x2df, v32
	v_add_co_ci_u32_e32 v11, vcc_lo, s13, v11, vcc_lo
	v_mad_u64_u32 v[49:50], null, s3, v45, v[25:26]
	v_mad_u64_u32 v[45:46], null, s3, v46, v[29:30]
	;; [unrolled: 1-line block ×4, first 2 shown]
	v_mov_b32_e32 v31, v49
	v_mov_b32_e32 v25, v48
	v_mov_b32_e32 v29, v45
	v_mad_u64_u32 v[47:48], null, s2, v52, 0
	v_mov_b32_e32 v27, v46
	v_mov_b32_e32 v23, v50
	v_lshlrev_b64 v[24:25], 2, v[24:25]
	v_lshlrev_b64 v[30:31], 2, v[30:31]
	;; [unrolled: 1-line block ×4, first 2 shown]
	v_add_co_u32 v24, vcc_lo, v10, v24
	v_add_co_ci_u32_e32 v25, vcc_lo, v11, v25, vcc_lo
	v_add_co_u32 v30, vcc_lo, v10, v30
	v_add_co_ci_u32_e32 v31, vcc_lo, v11, v31, vcc_lo
	;; [unrolled: 2-line block ×3, first 2 shown]
	s_waitcnt vmcnt(2)
	v_mul_f16_sdwa v45, v42, v21 dst_sel:DWORD dst_unused:UNUSED_PAD src0_sel:DWORD src1_sel:WORD_1
	s_waitcnt vmcnt(1)
	v_mul_f16_sdwa v46, v13, v0 dst_sel:DWORD dst_unused:UNUSED_PAD src0_sel:DWORD src1_sel:WORD_1
	v_mul_f16_sdwa v49, v36, v0 dst_sel:DWORD dst_unused:UNUSED_PAD src0_sel:DWORD src1_sel:WORD_1
	;; [unrolled: 1-line block ×7, first 2 shown]
	s_waitcnt vmcnt(0)
	v_mul_f16_sdwa v56, v14, v7 dst_sel:DWORD dst_unused:UNUSED_PAD src0_sel:DWORD src1_sel:WORD_1
	v_mul_f16_sdwa v57, v19, v2 dst_sel:DWORD dst_unused:UNUSED_PAD src0_sel:DWORD src1_sel:WORD_1
	;; [unrolled: 1-line block ×10, first 2 shown]
	v_fma_f16 v43, v43, v21, -v45
	v_fma_f16 v36, v36, v0, -v46
	v_fmac_f16_e32 v49, v13, v0
	v_mul_f16_sdwa v66, v40, v4 dst_sel:DWORD dst_unused:UNUSED_PAD src0_sel:DWORD src1_sel:WORD_1
	v_mul_f16_sdwa v67, v41, v5 dst_sel:DWORD dst_unused:UNUSED_PAD src0_sel:DWORD src1_sel:WORD_1
	v_fmac_f16_e32 v50, v42, v21
	v_fma_f16 v21, v44, v20, -v51
	v_fma_f16 v38, v38, v1, -v53
	v_fmac_f16_e32 v54, v18, v1
	v_fmac_f16_e32 v55, v15, v20
	v_fma_f16 v0, v33, v7, -v56
	v_fma_f16 v1, v37, v2, -v57
	v_fmac_f16_e32 v58, v19, v2
	v_fmac_f16_e32 v59, v14, v7
	v_fma_f16 v2, v34, v6, -v60
	v_fma_f16 v7, v39, v3, -v61
	v_fmac_f16_e32 v62, v16, v3
	v_fmac_f16_e32 v63, v9, v6
	v_fma_f16 v3, v41, v5, -v64
	v_fma_f16 v6, v40, v4, -v65
	v_sub_f16_e32 v13, v36, v43
	v_add_f16_e32 v15, v12, v49
	v_add_f16_e32 v34, v35, v36
	v_fmac_f16_e32 v66, v17, v4
	v_fmac_f16_e32 v67, v8, v5
	v_add_f16_e32 v4, v43, v36
	v_add_f16_e32 v8, v21, v38
	;; [unrolled: 1-line block ×6, first 2 shown]
	v_sub_f16_e32 v36, v38, v21
	v_sub_f16_e32 v39, v1, v0
	;; [unrolled: 1-line block ×4, first 2 shown]
	v_mul_f16_e32 v51, 0xb482, v13
	v_mul_f16_e32 v57, 0xba0c, v13
	;; [unrolled: 1-line block ×5, first 2 shown]
	v_add_f16_e32 v34, v34, v38
	v_add_f16_e32 v15, v15, v54
	v_sub_f16_e32 v5, v49, v50
	v_sub_f16_e32 v9, v54, v55
	;; [unrolled: 1-line block ×5, first 2 shown]
	v_add_f16_e32 v37, v55, v54
	v_add_f16_e32 v40, v59, v58
	;; [unrolled: 1-line block ×4, first 2 shown]
	v_mul_f16_e32 v46, 0xbbad, v4
	v_mul_f16_e32 v49, 0x3abb, v8
	;; [unrolled: 1-line block ×45, first 2 shown]
	v_fmamk_f16 v97, v14, 0xbbad, v51
	v_fmamk_f16 v99, v14, 0xb93d, v57
	;; [unrolled: 1-line block ×5, first 2 shown]
	v_fma_f16 v51, v14, 0xbbad, -v51
	v_fma_f16 v57, v14, 0xb93d, -v57
	;; [unrolled: 1-line block ×5, first 2 shown]
	v_add_f16_e32 v1, v34, v1
	v_add_f16_e32 v15, v15, v58
	v_fmamk_f16 v96, v5, 0x3482, v46
	v_fmamk_f16 v98, v5, 0x3a0c, v53
	;; [unrolled: 1-line block ×5, first 2 shown]
	v_fmac_f16_e32 v46, 0xb482, v5
	v_fmac_f16_e32 v53, 0xba0c, v5
	;; [unrolled: 1-line block ×5, first 2 shown]
	v_fmamk_f16 v5, v9, 0xb853, v49
	v_fmac_f16_e32 v49, 0x3853, v9
	v_fmamk_f16 v105, v9, 0xbbeb, v56
	v_fmac_f16_e32 v56, 0x3beb, v9
	;; [unrolled: 2-line block ×20, first 2 shown]
	v_fmamk_f16 v33, v37, 0x3abb, v38
	v_fma_f16 v38, v37, 0x3abb, -v38
	v_fmamk_f16 v121, v37, 0xb08e, v54
	v_fma_f16 v54, v37, 0xb08e, -v54
	;; [unrolled: 2-line block ×20, first 2 shown]
	v_add_f16_e32 v45, v12, v97
	v_add_f16_e32 v97, v12, v99
	;; [unrolled: 1-line block ×98, first 2 shown]
	v_pack_b32_f16 v0, v2, v0
	v_pack_b32_f16 v2, v16, v15
	v_add_f16_e32 v6, v37, v75
	v_add_f16_e32 v35, v38, v89
	;; [unrolled: 1-line block ×8, first 2 shown]
	global_store_dword v[24:25], v0, off
	global_store_dword v[30:31], v2, off
	v_mov_b32_e32 v2, v48
	v_add_co_u32 v3, vcc_lo, v10, v26
	v_add_f16_e32 v34, v35, v93
	v_add_f16_e32 v35, v36, v80
	;; [unrolled: 1-line block ×6, first 2 shown]
	v_pack_b32_f16 v8, v1, v5
	v_lshlrev_b64 v[0:1], 2, v[22:23]
	v_add_f16_e32 v33, v6, v79
	v_mad_u64_u32 v[5:6], null, s3, v52, v[2:3]
	v_add_f16_e32 v20, v4, v20
	v_add_co_ci_u32_e32 v4, vcc_lo, v11, v27, vcc_lo
	v_pack_b32_f16 v2, v14, v12
	global_store_dword v[28:29], v8, off
	v_add_nc_u32_e32 v8, 0x372, v32
	v_add_nc_u32_e32 v12, 0x405, v32
	v_add_co_u32 v0, vcc_lo, v10, v0
	v_add_co_ci_u32_e32 v1, vcc_lo, v11, v1, vcc_lo
	v_pack_b32_f16 v6, v9, v7
	v_add_nc_u32_e32 v15, 0x498, v32
	v_mov_b32_e32 v48, v5
	global_store_dword v[3:4], v2, off
	v_mad_u64_u32 v[2:3], null, s2, v8, 0
	v_mad_u64_u32 v[4:5], null, s2, v12, 0
	global_store_dword v[0:1], v6, off
	v_mad_u64_u32 v[6:7], null, s2, v15, 0
	v_lshlrev_b64 v[0:1], 2, v[47:48]
	v_add_nc_u32_e32 v16, 0x52b, v32
	v_mad_u64_u32 v[8:9], null, s3, v8, v[3:4]
	v_pack_b32_f16 v9, v19, v18
	v_mad_u64_u32 v[12:13], null, s3, v12, v[5:6]
	v_mov_b32_e32 v5, v7
	v_add_co_u32 v0, vcc_lo, v10, v0
	v_mad_u64_u32 v[13:14], null, s2, v16, 0
	v_add_co_ci_u32_e32 v1, vcc_lo, v11, v1, vcc_lo
	v_mov_b32_e32 v3, v8
	v_mad_u64_u32 v[7:8], null, s3, v15, v[5:6]
	v_add_nc_u32_e32 v15, 0x5be, v32
	global_store_dword v[0:1], v9, off
	v_lshlrev_b64 v[0:1], 2, v[2:3]
	v_mov_b32_e32 v5, v12
	v_mov_b32_e32 v2, v14
	v_mad_u64_u32 v[8:9], null, s2, v15, 0
	v_lshlrev_b64 v[6:7], 2, v[6:7]
	v_lshlrev_b64 v[4:5], 2, v[4:5]
	v_mad_u64_u32 v[2:3], null, s3, v16, v[2:3]
	v_add_co_u32 v0, vcc_lo, v10, v0
	v_mov_b32_e32 v3, v9
	v_add_co_ci_u32_e32 v1, vcc_lo, v11, v1, vcc_lo
	v_pack_b32_f16 v12, v21, v17
	v_mov_b32_e32 v14, v2
	v_mad_u64_u32 v[15:16], null, s3, v15, v[3:4]
	v_add_co_u32 v2, vcc_lo, v10, v4
	v_add_co_ci_u32_e32 v3, vcc_lo, v11, v5, vcc_lo
	v_lshlrev_b64 v[4:5], 2, v[13:14]
	v_add_co_u32 v6, vcc_lo, v10, v6
	v_mov_b32_e32 v9, v15
	v_add_co_ci_u32_e32 v7, vcc_lo, v11, v7, vcc_lo
	v_add_co_u32 v4, vcc_lo, v10, v4
	v_lshlrev_b64 v[8:9], 2, v[8:9]
	v_pack_b32_f16 v16, v34, v33
	v_add_co_ci_u32_e32 v5, vcc_lo, v11, v5, vcc_lo
	v_pack_b32_f16 v13, v36, v35
	v_pack_b32_f16 v14, v38, v37
	v_add_co_u32 v8, vcc_lo, v10, v8
	v_add_co_ci_u32_e32 v9, vcc_lo, v11, v9, vcc_lo
	v_pack_b32_f16 v10, v39, v20
	global_store_dword v[0:1], v12, off
	global_store_dword v[2:3], v16, off
	global_store_dword v[6:7], v13, off
	global_store_dword v[4:5], v14, off
	global_store_dword v[8:9], v10, off
	s_endpgm
	.section	.rodata,"a",@progbits
	.p2align	6, 0x0
	.amdhsa_kernel fft_rtc_back_len1617_factors_3_7_7_11_wgs_231_tpt_231_half_ip_CI_sbrr_dirReg
		.amdhsa_group_segment_fixed_size 0
		.amdhsa_private_segment_fixed_size 0
		.amdhsa_kernarg_size 88
		.amdhsa_user_sgpr_count 6
		.amdhsa_user_sgpr_private_segment_buffer 1
		.amdhsa_user_sgpr_dispatch_ptr 0
		.amdhsa_user_sgpr_queue_ptr 0
		.amdhsa_user_sgpr_kernarg_segment_ptr 1
		.amdhsa_user_sgpr_dispatch_id 0
		.amdhsa_user_sgpr_flat_scratch_init 0
		.amdhsa_user_sgpr_private_segment_size 0
		.amdhsa_wavefront_size32 1
		.amdhsa_uses_dynamic_stack 0
		.amdhsa_system_sgpr_private_segment_wavefront_offset 0
		.amdhsa_system_sgpr_workgroup_id_x 1
		.amdhsa_system_sgpr_workgroup_id_y 0
		.amdhsa_system_sgpr_workgroup_id_z 0
		.amdhsa_system_sgpr_workgroup_info 0
		.amdhsa_system_vgpr_workitem_id 0
		.amdhsa_next_free_vgpr 135
		.amdhsa_next_free_sgpr 23
		.amdhsa_reserve_vcc 1
		.amdhsa_reserve_flat_scratch 0
		.amdhsa_float_round_mode_32 0
		.amdhsa_float_round_mode_16_64 0
		.amdhsa_float_denorm_mode_32 3
		.amdhsa_float_denorm_mode_16_64 3
		.amdhsa_dx10_clamp 1
		.amdhsa_ieee_mode 1
		.amdhsa_fp16_overflow 0
		.amdhsa_workgroup_processor_mode 1
		.amdhsa_memory_ordered 1
		.amdhsa_forward_progress 0
		.amdhsa_shared_vgpr_count 0
		.amdhsa_exception_fp_ieee_invalid_op 0
		.amdhsa_exception_fp_denorm_src 0
		.amdhsa_exception_fp_ieee_div_zero 0
		.amdhsa_exception_fp_ieee_overflow 0
		.amdhsa_exception_fp_ieee_underflow 0
		.amdhsa_exception_fp_ieee_inexact 0
		.amdhsa_exception_int_div_zero 0
	.end_amdhsa_kernel
	.text
.Lfunc_end0:
	.size	fft_rtc_back_len1617_factors_3_7_7_11_wgs_231_tpt_231_half_ip_CI_sbrr_dirReg, .Lfunc_end0-fft_rtc_back_len1617_factors_3_7_7_11_wgs_231_tpt_231_half_ip_CI_sbrr_dirReg
                                        ; -- End function
	.section	.AMDGPU.csdata,"",@progbits
; Kernel info:
; codeLenInByte = 7240
; NumSgprs: 25
; NumVgprs: 135
; ScratchSize: 0
; MemoryBound: 0
; FloatMode: 240
; IeeeMode: 1
; LDSByteSize: 0 bytes/workgroup (compile time only)
; SGPRBlocks: 3
; VGPRBlocks: 16
; NumSGPRsForWavesPerEU: 25
; NumVGPRsForWavesPerEU: 135
; Occupancy: 7
; WaveLimiterHint : 1
; COMPUTE_PGM_RSRC2:SCRATCH_EN: 0
; COMPUTE_PGM_RSRC2:USER_SGPR: 6
; COMPUTE_PGM_RSRC2:TRAP_HANDLER: 0
; COMPUTE_PGM_RSRC2:TGID_X_EN: 1
; COMPUTE_PGM_RSRC2:TGID_Y_EN: 0
; COMPUTE_PGM_RSRC2:TGID_Z_EN: 0
; COMPUTE_PGM_RSRC2:TIDIG_COMP_CNT: 0
	.text
	.p2alignl 6, 3214868480
	.fill 48, 4, 3214868480
	.type	__hip_cuid_cc25417fe1049064,@object ; @__hip_cuid_cc25417fe1049064
	.section	.bss,"aw",@nobits
	.globl	__hip_cuid_cc25417fe1049064
__hip_cuid_cc25417fe1049064:
	.byte	0                               ; 0x0
	.size	__hip_cuid_cc25417fe1049064, 1

	.ident	"AMD clang version 19.0.0git (https://github.com/RadeonOpenCompute/llvm-project roc-6.4.0 25133 c7fe45cf4b819c5991fe208aaa96edf142730f1d)"
	.section	".note.GNU-stack","",@progbits
	.addrsig
	.addrsig_sym __hip_cuid_cc25417fe1049064
	.amdgpu_metadata
---
amdhsa.kernels:
  - .args:
      - .actual_access:  read_only
        .address_space:  global
        .offset:         0
        .size:           8
        .value_kind:     global_buffer
      - .offset:         8
        .size:           8
        .value_kind:     by_value
      - .actual_access:  read_only
        .address_space:  global
        .offset:         16
        .size:           8
        .value_kind:     global_buffer
      - .actual_access:  read_only
        .address_space:  global
        .offset:         24
        .size:           8
        .value_kind:     global_buffer
      - .offset:         32
        .size:           8
        .value_kind:     by_value
      - .actual_access:  read_only
        .address_space:  global
        .offset:         40
        .size:           8
        .value_kind:     global_buffer
      - .actual_access:  read_only
        .address_space:  global
        .offset:         48
        .size:           8
        .value_kind:     global_buffer
      - .offset:         56
        .size:           4
        .value_kind:     by_value
      - .actual_access:  read_only
        .address_space:  global
        .offset:         64
        .size:           8
        .value_kind:     global_buffer
      - .actual_access:  read_only
        .address_space:  global
        .offset:         72
        .size:           8
        .value_kind:     global_buffer
      - .address_space:  global
        .offset:         80
        .size:           8
        .value_kind:     global_buffer
    .group_segment_fixed_size: 0
    .kernarg_segment_align: 8
    .kernarg_segment_size: 88
    .language:       OpenCL C
    .language_version:
      - 2
      - 0
    .max_flat_workgroup_size: 231
    .name:           fft_rtc_back_len1617_factors_3_7_7_11_wgs_231_tpt_231_half_ip_CI_sbrr_dirReg
    .private_segment_fixed_size: 0
    .sgpr_count:     25
    .sgpr_spill_count: 0
    .symbol:         fft_rtc_back_len1617_factors_3_7_7_11_wgs_231_tpt_231_half_ip_CI_sbrr_dirReg.kd
    .uniform_work_group_size: 1
    .uses_dynamic_stack: false
    .vgpr_count:     135
    .vgpr_spill_count: 0
    .wavefront_size: 32
    .workgroup_processor_mode: 1
amdhsa.target:   amdgcn-amd-amdhsa--gfx1030
amdhsa.version:
  - 1
  - 2
...

	.end_amdgpu_metadata
